;; amdgpu-corpus repo=ROCm/rocFFT kind=compiled arch=gfx906 opt=O3
	.text
	.amdgcn_target "amdgcn-amd-amdhsa--gfx906"
	.amdhsa_code_object_version 6
	.protected	fft_rtc_back_len1008_factors_2_2_2_2_3_3_7_wgs_56_tpt_56_halfLds_sp_ip_CI_unitstride_sbrr_dirReg ; -- Begin function fft_rtc_back_len1008_factors_2_2_2_2_3_3_7_wgs_56_tpt_56_halfLds_sp_ip_CI_unitstride_sbrr_dirReg
	.globl	fft_rtc_back_len1008_factors_2_2_2_2_3_3_7_wgs_56_tpt_56_halfLds_sp_ip_CI_unitstride_sbrr_dirReg
	.p2align	8
	.type	fft_rtc_back_len1008_factors_2_2_2_2_3_3_7_wgs_56_tpt_56_halfLds_sp_ip_CI_unitstride_sbrr_dirReg,@function
fft_rtc_back_len1008_factors_2_2_2_2_3_3_7_wgs_56_tpt_56_halfLds_sp_ip_CI_unitstride_sbrr_dirReg: ; @fft_rtc_back_len1008_factors_2_2_2_2_3_3_7_wgs_56_tpt_56_halfLds_sp_ip_CI_unitstride_sbrr_dirReg
; %bb.0:
	s_load_dwordx2 s[2:3], s[4:5], 0x50
	s_load_dwordx4 s[8:11], s[4:5], 0x0
	s_load_dwordx2 s[12:13], s[4:5], 0x18
	v_mul_u32_u24_e32 v1, 0x493, v0
	v_add_u32_sdwa v5, s6, v1 dst_sel:DWORD dst_unused:UNUSED_PAD src0_sel:DWORD src1_sel:WORD_1
	v_mov_b32_e32 v3, 0
	s_waitcnt lgkmcnt(0)
	v_cmp_lt_u64_e64 s[0:1], s[10:11], 2
	v_mov_b32_e32 v1, 0
	v_mov_b32_e32 v6, v3
	s_and_b64 vcc, exec, s[0:1]
	v_mov_b32_e32 v2, 0
	s_cbranch_vccnz .LBB0_8
; %bb.1:
	s_load_dwordx2 s[0:1], s[4:5], 0x10
	s_add_u32 s6, s12, 8
	s_addc_u32 s7, s13, 0
	v_mov_b32_e32 v1, 0
	v_mov_b32_e32 v2, 0
	s_waitcnt lgkmcnt(0)
	s_add_u32 s14, s0, 8
	s_addc_u32 s15, s1, 0
	s_mov_b64 s[16:17], 1
.LBB0_2:                                ; =>This Inner Loop Header: Depth=1
	s_load_dwordx2 s[18:19], s[14:15], 0x0
                                        ; implicit-def: $vgpr7_vgpr8
	s_waitcnt lgkmcnt(0)
	v_or_b32_e32 v4, s19, v6
	v_cmp_ne_u64_e32 vcc, 0, v[3:4]
	s_and_saveexec_b64 s[0:1], vcc
	s_xor_b64 s[20:21], exec, s[0:1]
	s_cbranch_execz .LBB0_4
; %bb.3:                                ;   in Loop: Header=BB0_2 Depth=1
	v_cvt_f32_u32_e32 v4, s18
	v_cvt_f32_u32_e32 v7, s19
	s_sub_u32 s0, 0, s18
	s_subb_u32 s1, 0, s19
	v_mac_f32_e32 v4, 0x4f800000, v7
	v_rcp_f32_e32 v4, v4
	v_mul_f32_e32 v4, 0x5f7ffffc, v4
	v_mul_f32_e32 v7, 0x2f800000, v4
	v_trunc_f32_e32 v7, v7
	v_mac_f32_e32 v4, 0xcf800000, v7
	v_cvt_u32_f32_e32 v7, v7
	v_cvt_u32_f32_e32 v4, v4
	v_mul_lo_u32 v8, s0, v7
	v_mul_hi_u32 v9, s0, v4
	v_mul_lo_u32 v11, s1, v4
	v_mul_lo_u32 v10, s0, v4
	v_add_u32_e32 v8, v9, v8
	v_add_u32_e32 v8, v8, v11
	v_mul_hi_u32 v9, v4, v10
	v_mul_lo_u32 v11, v4, v8
	v_mul_hi_u32 v13, v4, v8
	v_mul_hi_u32 v12, v7, v10
	v_mul_lo_u32 v10, v7, v10
	v_mul_hi_u32 v14, v7, v8
	v_add_co_u32_e32 v9, vcc, v9, v11
	v_addc_co_u32_e32 v11, vcc, 0, v13, vcc
	v_mul_lo_u32 v8, v7, v8
	v_add_co_u32_e32 v9, vcc, v9, v10
	v_addc_co_u32_e32 v9, vcc, v11, v12, vcc
	v_addc_co_u32_e32 v10, vcc, 0, v14, vcc
	v_add_co_u32_e32 v8, vcc, v9, v8
	v_addc_co_u32_e32 v9, vcc, 0, v10, vcc
	v_add_co_u32_e32 v4, vcc, v4, v8
	v_addc_co_u32_e32 v7, vcc, v7, v9, vcc
	v_mul_lo_u32 v8, s0, v7
	v_mul_hi_u32 v9, s0, v4
	v_mul_lo_u32 v10, s1, v4
	v_mul_lo_u32 v11, s0, v4
	v_add_u32_e32 v8, v9, v8
	v_add_u32_e32 v8, v8, v10
	v_mul_lo_u32 v12, v4, v8
	v_mul_hi_u32 v13, v4, v11
	v_mul_hi_u32 v14, v4, v8
	;; [unrolled: 1-line block ×3, first 2 shown]
	v_mul_lo_u32 v11, v7, v11
	v_mul_hi_u32 v9, v7, v8
	v_add_co_u32_e32 v12, vcc, v13, v12
	v_addc_co_u32_e32 v13, vcc, 0, v14, vcc
	v_mul_lo_u32 v8, v7, v8
	v_add_co_u32_e32 v11, vcc, v12, v11
	v_addc_co_u32_e32 v10, vcc, v13, v10, vcc
	v_addc_co_u32_e32 v9, vcc, 0, v9, vcc
	v_add_co_u32_e32 v8, vcc, v10, v8
	v_addc_co_u32_e32 v9, vcc, 0, v9, vcc
	v_add_co_u32_e32 v4, vcc, v4, v8
	v_addc_co_u32_e32 v9, vcc, v7, v9, vcc
	v_mad_u64_u32 v[7:8], s[0:1], v5, v9, 0
	v_mul_hi_u32 v10, v5, v4
	v_add_co_u32_e32 v11, vcc, v10, v7
	v_addc_co_u32_e32 v12, vcc, 0, v8, vcc
	v_mad_u64_u32 v[7:8], s[0:1], v6, v4, 0
	v_mad_u64_u32 v[9:10], s[0:1], v6, v9, 0
	v_add_co_u32_e32 v4, vcc, v11, v7
	v_addc_co_u32_e32 v4, vcc, v12, v8, vcc
	v_addc_co_u32_e32 v7, vcc, 0, v10, vcc
	v_add_co_u32_e32 v4, vcc, v4, v9
	v_addc_co_u32_e32 v9, vcc, 0, v7, vcc
	v_mul_lo_u32 v10, s19, v4
	v_mul_lo_u32 v11, s18, v9
	v_mad_u64_u32 v[7:8], s[0:1], s18, v4, 0
	v_add3_u32 v8, v8, v11, v10
	v_sub_u32_e32 v10, v6, v8
	v_mov_b32_e32 v11, s19
	v_sub_co_u32_e32 v7, vcc, v5, v7
	v_subb_co_u32_e64 v10, s[0:1], v10, v11, vcc
	v_subrev_co_u32_e64 v11, s[0:1], s18, v7
	v_subbrev_co_u32_e64 v10, s[0:1], 0, v10, s[0:1]
	v_cmp_le_u32_e64 s[0:1], s19, v10
	v_cndmask_b32_e64 v12, 0, -1, s[0:1]
	v_cmp_le_u32_e64 s[0:1], s18, v11
	v_cndmask_b32_e64 v11, 0, -1, s[0:1]
	v_cmp_eq_u32_e64 s[0:1], s19, v10
	v_cndmask_b32_e64 v10, v12, v11, s[0:1]
	v_add_co_u32_e64 v11, s[0:1], 2, v4
	v_addc_co_u32_e64 v12, s[0:1], 0, v9, s[0:1]
	v_add_co_u32_e64 v13, s[0:1], 1, v4
	v_addc_co_u32_e64 v14, s[0:1], 0, v9, s[0:1]
	v_subb_co_u32_e32 v8, vcc, v6, v8, vcc
	v_cmp_ne_u32_e64 s[0:1], 0, v10
	v_cmp_le_u32_e32 vcc, s19, v8
	v_cndmask_b32_e64 v10, v14, v12, s[0:1]
	v_cndmask_b32_e64 v12, 0, -1, vcc
	v_cmp_le_u32_e32 vcc, s18, v7
	v_cndmask_b32_e64 v7, 0, -1, vcc
	v_cmp_eq_u32_e32 vcc, s19, v8
	v_cndmask_b32_e32 v7, v12, v7, vcc
	v_cmp_ne_u32_e32 vcc, 0, v7
	v_cndmask_b32_e64 v7, v13, v11, s[0:1]
	v_cndmask_b32_e32 v8, v9, v10, vcc
	v_cndmask_b32_e32 v7, v4, v7, vcc
.LBB0_4:                                ;   in Loop: Header=BB0_2 Depth=1
	s_andn2_saveexec_b64 s[0:1], s[20:21]
	s_cbranch_execz .LBB0_6
; %bb.5:                                ;   in Loop: Header=BB0_2 Depth=1
	v_cvt_f32_u32_e32 v4, s18
	s_sub_i32 s20, 0, s18
	v_rcp_iflag_f32_e32 v4, v4
	v_mul_f32_e32 v4, 0x4f7ffffe, v4
	v_cvt_u32_f32_e32 v4, v4
	v_mul_lo_u32 v7, s20, v4
	v_mul_hi_u32 v7, v4, v7
	v_add_u32_e32 v4, v4, v7
	v_mul_hi_u32 v4, v5, v4
	v_mul_lo_u32 v7, v4, s18
	v_add_u32_e32 v8, 1, v4
	v_sub_u32_e32 v7, v5, v7
	v_subrev_u32_e32 v9, s18, v7
	v_cmp_le_u32_e32 vcc, s18, v7
	v_cndmask_b32_e32 v7, v7, v9, vcc
	v_cndmask_b32_e32 v4, v4, v8, vcc
	v_add_u32_e32 v8, 1, v4
	v_cmp_le_u32_e32 vcc, s18, v7
	v_cndmask_b32_e32 v7, v4, v8, vcc
	v_mov_b32_e32 v8, v3
.LBB0_6:                                ;   in Loop: Header=BB0_2 Depth=1
	s_or_b64 exec, exec, s[0:1]
	v_mul_lo_u32 v4, v8, s18
	v_mul_lo_u32 v11, v7, s19
	v_mad_u64_u32 v[9:10], s[0:1], v7, s18, 0
	s_load_dwordx2 s[0:1], s[6:7], 0x0
	s_add_u32 s16, s16, 1
	v_add3_u32 v4, v10, v11, v4
	v_sub_co_u32_e32 v5, vcc, v5, v9
	v_subb_co_u32_e32 v4, vcc, v6, v4, vcc
	s_waitcnt lgkmcnt(0)
	v_mul_lo_u32 v4, s0, v4
	v_mul_lo_u32 v6, s1, v5
	v_mad_u64_u32 v[1:2], s[0:1], s0, v5, v[1:2]
	s_addc_u32 s17, s17, 0
	s_add_u32 s6, s6, 8
	v_add3_u32 v2, v6, v2, v4
	v_mov_b32_e32 v4, s10
	v_mov_b32_e32 v5, s11
	s_addc_u32 s7, s7, 0
	v_cmp_ge_u64_e32 vcc, s[16:17], v[4:5]
	s_add_u32 s14, s14, 8
	s_addc_u32 s15, s15, 0
	s_cbranch_vccnz .LBB0_9
; %bb.7:                                ;   in Loop: Header=BB0_2 Depth=1
	v_mov_b32_e32 v5, v7
	v_mov_b32_e32 v6, v8
	s_branch .LBB0_2
.LBB0_8:
	v_mov_b32_e32 v8, v6
	v_mov_b32_e32 v7, v5
.LBB0_9:
	s_lshl_b64 s[0:1], s[10:11], 3
	s_add_u32 s0, s12, s0
	s_addc_u32 s1, s13, s1
	s_load_dwordx2 s[6:7], s[0:1], 0x0
	s_load_dwordx2 s[10:11], s[4:5], 0x20
                                        ; implicit-def: $vgpr40
	s_waitcnt lgkmcnt(0)
	v_mad_u64_u32 v[1:2], s[0:1], s6, v7, v[1:2]
	s_mov_b32 s0, 0x4924925
	v_mul_lo_u32 v3, s6, v8
	v_mul_lo_u32 v4, s7, v7
	v_mul_hi_u32 v5, v0, s0
	v_cmp_gt_u64_e64 s[0:1], s[10:11], v[7:8]
	v_cmp_le_u64_e32 vcc, s[10:11], v[7:8]
	v_add3_u32 v2, v4, v2, v3
	v_mul_u32_u24_e32 v3, 56, v5
	v_sub_u32_e32 v0, v0, v3
                                        ; implicit-def: $sgpr6_sgpr7
	s_and_saveexec_b64 s[4:5], vcc
	s_xor_b64 s[4:5], exec, s[4:5]
; %bb.10:
	v_or_b32_e32 v40, 0x1c0, v0
	s_mov_b64 s[6:7], 0
; %bb.11:
	s_or_saveexec_b64 s[4:5], s[4:5]
	v_mov_b32_e32 v37, s7
	v_lshlrev_b64 v[2:3], 3, v[1:2]
	v_mov_b32_e32 v17, s7
	v_mov_b32_e32 v13, s7
	v_mov_b32_e32 v11, s7
	v_mov_b32_e32 v33, s7
	v_mov_b32_e32 v31, s7
	v_mov_b32_e32 v27, s7
	v_mov_b32_e32 v25, s7
	v_mov_b32_e32 v29, s7
	v_mov_b32_e32 v36, s6
	v_mov_b32_e32 v16, s6
	v_mov_b32_e32 v12, s6
	v_mov_b32_e32 v10, s6
	v_mov_b32_e32 v32, s6
	v_mov_b32_e32 v30, s6
	v_mov_b32_e32 v26, s6
	v_mov_b32_e32 v24, s6
	v_mov_b32_e32 v28, s6
                                        ; implicit-def: $vgpr39
                                        ; implicit-def: $vgpr23
                                        ; implicit-def: $vgpr19
                                        ; implicit-def: $vgpr15
                                        ; implicit-def: $vgpr7
                                        ; implicit-def: $vgpr9
                                        ; implicit-def: $vgpr21
                                        ; implicit-def: $vgpr5
                                        ; implicit-def: $vgpr35
	s_xor_b64 exec, exec, s[4:5]
	s_cbranch_execz .LBB0_13
; %bb.12:
	v_mov_b32_e32 v1, 0
	v_mov_b32_e32 v4, s3
	v_add_co_u32_e32 v8, vcc, s2, v2
	v_addc_co_u32_e32 v9, vcc, v4, v3, vcc
	v_lshlrev_b64 v[4:5], 3, v[0:1]
	v_or_b32_e32 v6, 0x380, v0
	v_add_co_u32_e32 v40, vcc, v8, v4
	v_addc_co_u32_e32 v41, vcc, v9, v5, vcc
	v_mov_b32_e32 v7, v1
	v_add_co_u32_e32 v42, vcc, 0x1000, v40
	v_lshlrev_b64 v[6:7], 3, v[6:7]
	v_addc_co_u32_e32 v43, vcc, 0, v41, vcc
	v_add_co_u32_e32 v44, vcc, v8, v6
	global_load_dwordx2 v[4:5], v[42:43], off offset:832
	global_load_dwordx2 v[36:37], v[40:41], off
	global_load_dwordx2 v[16:17], v[40:41], off offset:448
	global_load_dwordx2 v[12:13], v[40:41], off offset:896
	;; [unrolled: 1-line block ×3, first 2 shown]
	v_addc_co_u32_e32 v45, vcc, v9, v7, vcc
	global_load_dwordx2 v[32:33], v[40:41], off offset:1792
	global_load_dwordx2 v[30:31], v[40:41], off offset:2240
	;; [unrolled: 1-line block ×11, first 2 shown]
	global_load_dwordx2 v[6:7], v[44:45], off
	global_load_dwordx2 v[8:9], v[42:43], off offset:3520
	v_or_b32_e32 v40, 0x1c0, v0
.LBB0_13:
	s_or_b64 exec, exec, s[4:5]
	s_waitcnt vmcnt(7)
	v_sub_f32_e32 v42, v36, v38
	v_sub_f32_e32 v38, v37, v39
	v_fma_f32 v41, v36, 2.0, -v42
	v_lshl_add_u32 v39, v0, 3, 0
	ds_write_b64 v39, v[41:42]
	s_waitcnt vmcnt(5)
	v_sub_f32_e32 v42, v10, v22
	v_add_u32_e32 v22, 0xa8, v0
	v_sub_f32_e32 v44, v16, v34
	v_fma_f32 v41, v10, 2.0, -v42
	v_lshl_add_u32 v64, v22, 3, 0
	v_fma_f32 v43, v16, 2.0, -v44
	ds_write_b64 v64, v[41:42]
	s_waitcnt vmcnt(4)
	v_sub_f32_e32 v42, v32, v18
	v_add_u32_e32 v16, 0xe0, v0
	v_fma_f32 v41, v32, 2.0, -v42
	v_lshl_add_u32 v32, v16, 3, 0
	ds_write_b64 v32, v[41:42]
	s_waitcnt vmcnt(3)
	v_sub_f32_e32 v42, v30, v14
	v_add_u32_e32 v10, 0x118, v0
	v_fma_f32 v41, v30, 2.0, -v42
	v_lshl_add_u32 v30, v10, 3, 0
	ds_write_b64 v30, v[41:42]
	s_waitcnt vmcnt(2)
	v_sub_f32_e32 v42, v26, v20
	v_fma_f32 v41, v26, 2.0, -v42
	v_add_u32_e32 v26, 0x150, v0
	v_lshl_add_u32 v20, v26, 3, 0
	ds_write_b64 v20, v[41:42]
	s_waitcnt vmcnt(1)
	v_sub_f32_e32 v42, v24, v6
	v_add_u32_e32 v1, 56, v0
	v_fma_f32 v41, v24, 2.0, -v42
	v_add_u32_e32 v24, 0x188, v0
	v_lshl_add_u32 v62, v1, 3, 0
	v_lshl_add_u32 v65, v24, 3, 0
	v_sub_f32_e32 v46, v12, v4
	ds_write_b64 v62, v[43:44]
	v_add_u32_e32 v44, 0x70, v0
	ds_write_b64 v65, v[41:42]
	s_waitcnt vmcnt(0)
	v_sub_f32_e32 v42, v28, v8
	v_fma_f32 v45, v12, 2.0, -v46
	v_lshl_add_u32 v63, v44, 3, 0
	v_fma_f32 v41, v28, 2.0, -v42
	v_lshl_add_u32 v28, v40, 3, 0
	v_lshlrev_b32_e32 v4, 2, v40
	v_sub_f32_e32 v14, v13, v5
	ds_write_b64 v63, v[45:46]
	v_sub_u32_e32 v4, v28, v4
	v_lshl_add_u32 v45, v0, 2, 0
	v_fma_f32 v13, v13, 2.0, -v14
	ds_write_b64 v28, v[41:42]
	s_waitcnt lgkmcnt(0)
	; wave barrier
	s_waitcnt lgkmcnt(0)
	v_add_u32_e32 v12, 0x600, v45
	v_add_u32_e32 v34, 0x800, v45
	;; [unrolled: 1-line block ×6, first 2 shown]
	ds_read_b32 v41, v4
	ds_read_b32 v66, v45 offset:3808
	ds_read2_b32 v[46:47], v45 offset1:56
	ds_read2_b32 v[48:49], v12 offset0:120 offset1:176
	ds_read2_b32 v[50:51], v45 offset0:112 offset1:168
	;; [unrolled: 1-line block ×7, first 2 shown]
	s_waitcnt lgkmcnt(0)
	; wave barrier
	s_waitcnt lgkmcnt(0)
	ds_write_b64 v63, v[13:14]
	v_sub_f32_e32 v14, v11, v23
	v_fma_f32 v13, v11, 2.0, -v14
	ds_write_b64 v64, v[13:14]
	v_sub_f32_e32 v14, v33, v19
	v_fma_f32 v13, v33, 2.0, -v14
	ds_write_b64 v32, v[13:14]
	v_sub_f32_e32 v14, v31, v15
	v_fma_f32 v13, v31, 2.0, -v14
	ds_write_b64 v30, v[13:14]
	v_sub_f32_e32 v14, v27, v21
	v_sub_f32_e32 v18, v17, v35
	v_fma_f32 v13, v27, 2.0, -v14
	v_sub_f32_e32 v8, v25, v7
	v_fma_f32 v37, v37, 2.0, -v38
	v_fma_f32 v17, v17, 2.0, -v18
	ds_write_b64 v20, v[13:14]
	v_fma_f32 v7, v25, 2.0, -v8
	v_sub_f32_e32 v14, v29, v9
	v_and_b32_e32 v5, 1, v0
	ds_write_b64 v39, v[37:38]
	ds_write_b64 v62, v[17:18]
	v_fma_f32 v13, v29, 2.0, -v14
	ds_write_b64 v65, v[7:8]
	ds_write_b64 v28, v[13:14]
	v_lshlrev_b32_e32 v7, 3, v5
	s_waitcnt lgkmcnt(0)
	; wave barrier
	s_waitcnt lgkmcnt(0)
	global_load_dwordx2 v[7:8], v7, s[8:9]
	ds_read2_b32 v[13:14], v12 offset0:120 offset1:176
	ds_read2_b32 v[17:18], v34 offset0:104 offset1:160
	s_movk_i32 s4, 0x7c
	v_lshlrev_b32_e32 v62, 1, v1
	v_lshlrev_b32_e32 v65, 1, v16
	s_movk_i32 s5, 0x2fc
	v_lshlrev_b32_e32 v68, 1, v40
	v_cmp_gt_u32_e32 vcc, 48, v0
	s_waitcnt vmcnt(0)
	v_mul_f32_e32 v11, v48, v8
	s_waitcnt lgkmcnt(1)
	v_mul_f32_e32 v9, v13, v8
	v_fma_f32 v11, v13, v7, -v11
	v_mul_f32_e32 v13, v49, v8
	v_mul_f32_e32 v15, v14, v8
	v_fma_f32 v21, v14, v7, -v13
	ds_read2_b32 v[13:14], v42 offset0:88 offset1:144
	v_mul_f32_e32 v19, v52, v8
	v_mul_f32_e32 v20, v53, v8
	s_waitcnt lgkmcnt(1)
	v_mul_f32_e32 v23, v17, v8
	v_mul_f32_e32 v25, v18, v8
	v_fma_f32 v33, v17, v7, -v19
	v_fma_f32 v35, v18, v7, -v20
	ds_read2_b32 v[17:18], v43 offset0:72 offset1:128
	v_mul_f32_e32 v20, v57, v8
	v_fmac_f32_e32 v15, v49, v7
	s_waitcnt lgkmcnt(1)
	v_mul_f32_e32 v28, v14, v8
	v_fma_f32 v49, v14, v7, -v20
	ds_read_b32 v14, v45 offset:3808
	v_mul_f32_e32 v19, v56, v8
	s_waitcnt lgkmcnt(1)
	v_mul_f32_e32 v29, v17, v8
	v_fmac_f32_e32 v9, v48, v7
	v_mul_f32_e32 v27, v13, v8
	v_fma_f32 v48, v13, v7, -v19
	v_fmac_f32_e32 v29, v60, v7
	v_mul_f32_e32 v13, v60, v8
	v_lshlrev_b32_e32 v60, 1, v0
	v_mul_f32_e32 v30, v18, v8
	v_sub_f32_e32 v9, v46, v9
	v_and_or_b32 v32, v60, s4, v5
	v_fmac_f32_e32 v27, v56, v7
	ds_read_b32 v56, v4
	v_fmac_f32_e32 v30, v61, v7
	v_mul_f32_e32 v19, v61, v8
	s_waitcnt lgkmcnt(1)
	v_mul_f32_e32 v31, v14, v8
	v_mul_f32_e32 v8, v66, v8
	v_lshl_add_u32 v61, v32, 2, 0
	v_fma_f32 v32, v46, 2.0, -v9
	s_movk_i32 s4, 0xfc
	v_fmac_f32_e32 v23, v52, v7
	v_fmac_f32_e32 v25, v53, v7
	v_fmac_f32_e32 v28, v57, v7
	v_fma_f32 v52, v17, v7, -v13
	v_fma_f32 v53, v18, v7, -v19
	v_fmac_f32_e32 v31, v66, v7
	v_fma_f32 v57, v14, v7, -v8
	ds_read2_b32 v[7:8], v45 offset1:56
	ds_read2_b32 v[13:14], v45 offset0:112 offset1:168
	ds_read2_b32 v[17:18], v6 offset0:96 offset1:152
	;; [unrolled: 1-line block ×3, first 2 shown]
	s_waitcnt lgkmcnt(0)
	; wave barrier
	s_waitcnt lgkmcnt(0)
	ds_write2_b32 v61, v32, v9 offset1:2
	v_sub_f32_e32 v9, v47, v15
	v_and_or_b32 v32, v62, s4, v5
	v_fma_f32 v15, v47, 2.0, -v9
	v_lshl_add_u32 v63, v32, 2, 0
	ds_write2_b32 v63, v15, v9 offset1:2
	s_movk_i32 s4, 0x1fc
	v_lshlrev_b32_e32 v15, 1, v44
	v_sub_f32_e32 v9, v50, v23
	v_and_or_b32 v23, v15, s4, v5
	v_lshl_add_u32 v64, v23, 2, 0
	v_fma_f32 v23, v50, 2.0, -v9
	v_lshlrev_b32_e32 v50, 1, v22
	ds_write2_b32 v64, v23, v9 offset1:2
	v_sub_f32_e32 v9, v51, v25
	v_and_or_b32 v25, v50, s4, v5
	v_fma_f32 v23, v51, 2.0, -v9
	v_lshl_add_u32 v51, v25, 2, 0
	s_movk_i32 s4, 0x3fc
	ds_write2_b32 v51, v23, v9 offset1:2
	v_sub_f32_e32 v9, v54, v27
	v_and_or_b32 v23, v65, s4, v5
	v_lshl_add_u32 v66, v23, 2, 0
	v_fma_f32 v23, v54, 2.0, -v9
	v_lshlrev_b32_e32 v54, 1, v10
	ds_write2_b32 v66, v23, v9 offset1:2
	v_sub_f32_e32 v9, v55, v28
	v_and_or_b32 v25, v54, s5, v5
	v_fma_f32 v23, v55, 2.0, -v9
	v_lshl_add_u32 v55, v25, 2, 0
	ds_write2_b32 v55, v23, v9 offset1:2
	v_lshlrev_b32_e32 v9, 1, v26
	v_sub_f32_e32 v23, v58, v29
	v_and_or_b32 v25, v9, s4, v5
	v_lshl_add_u32 v67, v25, 2, 0
	v_fma_f32 v25, v58, 2.0, -v23
	v_lshlrev_b32_e32 v58, 1, v24
	ds_write2_b32 v67, v25, v23 offset1:2
	v_sub_f32_e32 v23, v59, v30
	v_and_or_b32 v24, v58, s4, v5
	v_fma_f32 v25, v59, 2.0, -v23
	v_lshl_add_u32 v59, v24, 2, 0
	ds_write2_b32 v59, v25, v23 offset1:2
	v_sub_f32_e32 v23, v41, v31
	v_and_or_b32 v5, v68, s4, v5
	v_sub_f32_e32 v11, v7, v11
	v_fma_f32 v24, v41, 2.0, -v23
	v_lshl_add_u32 v5, v5, 2, 0
	v_fma_f32 v7, v7, 2.0, -v11
	ds_write2_b32 v5, v24, v23 offset1:2
	s_waitcnt lgkmcnt(0)
	; wave barrier
	s_waitcnt lgkmcnt(0)
	ds_read_b32 v41, v4
	ds_read_b32 v69, v45 offset:3808
	ds_read2_b32 v[23:24], v45 offset1:56
	ds_read2_b32 v[25:26], v12 offset0:120 offset1:176
	ds_read2_b32 v[27:28], v45 offset0:112 offset1:168
	;; [unrolled: 1-line block ×7, first 2 shown]
	s_waitcnt lgkmcnt(0)
	; wave barrier
	s_waitcnt lgkmcnt(0)
	ds_write2_b32 v61, v7, v11 offset1:2
	v_sub_f32_e32 v7, v8, v21
	v_fma_f32 v8, v8, 2.0, -v7
	ds_write2_b32 v63, v8, v7 offset1:2
	v_sub_f32_e32 v7, v13, v33
	v_fma_f32 v8, v13, 2.0, -v7
	;; [unrolled: 3-line block ×8, first 2 shown]
	ds_write2_b32 v5, v8, v7 offset1:2
	v_and_b32_e32 v5, 3, v0
	v_lshlrev_b32_e32 v7, 3, v5
	s_waitcnt lgkmcnt(0)
	; wave barrier
	s_waitcnt lgkmcnt(0)
	global_load_dwordx2 v[7:8], v7, s[8:9] offset:16
	ds_read2_b32 v[13:14], v12 offset0:120 offset1:176
	ds_read2_b32 v[17:18], v34 offset0:104 offset1:160
	s_movk_i32 s4, 0x78
	ds_read_b32 v56, v4
	s_movk_i32 s5, 0x2f8
	s_waitcnt vmcnt(0) lgkmcnt(2)
	v_mul_f32_e32 v11, v13, v8
	v_mul_f32_e32 v19, v25, v8
	;; [unrolled: 1-line block ×3, first 2 shown]
	v_fmac_f32_e32 v11, v25, v7
	v_mul_f32_e32 v21, v14, v8
	v_fma_f32 v25, v13, v7, -v19
	v_fma_f32 v33, v14, v7, -v20
	ds_read2_b32 v[13:14], v42 offset0:88 offset1:144
	v_mul_f32_e32 v19, v29, v8
	v_mul_f32_e32 v20, v30, v8
	v_fmac_f32_e32 v21, v26, v7
	s_waitcnt lgkmcnt(2)
	v_mul_f32_e32 v26, v17, v8
	v_mul_f32_e32 v35, v18, v8
	v_fma_f32 v48, v17, v7, -v19
	v_fma_f32 v49, v18, v7, -v20
	ds_read2_b32 v[17:18], v43 offset0:72 offset1:128
	v_mul_f32_e32 v20, v38, v8
	v_fmac_f32_e32 v35, v30, v7
	s_waitcnt lgkmcnt(1)
	v_mul_f32_e32 v30, v14, v8
	v_fma_f32 v52, v14, v7, -v20
	ds_read_b32 v14, v45 offset:3808
	v_fmac_f32_e32 v26, v29, v7
	v_mul_f32_e32 v29, v13, v8
	v_fmac_f32_e32 v30, v38, v7
	v_mul_f32_e32 v19, v37, v8
	s_waitcnt lgkmcnt(1)
	v_mul_f32_e32 v38, v18, v8
	v_fmac_f32_e32 v29, v37, v7
	v_fma_f32 v51, v13, v7, -v19
	v_mul_f32_e32 v37, v17, v8
	v_fmac_f32_e32 v38, v47, v7
	v_mul_f32_e32 v19, v47, v8
	v_sub_f32_e32 v11, v23, v11
	v_and_or_b32 v47, v60, s4, v5
	v_fmac_f32_e32 v37, v46, v7
	v_mul_f32_e32 v13, v46, v8
	s_waitcnt lgkmcnt(0)
	v_mul_f32_e32 v46, v14, v8
	v_mul_f32_e32 v8, v69, v8
	v_lshl_add_u32 v59, v47, 2, 0
	v_fma_f32 v23, v23, 2.0, -v11
	s_movk_i32 s4, 0xf8
	v_fma_f32 v53, v17, v7, -v13
	v_fma_f32 v55, v18, v7, -v19
	v_fmac_f32_e32 v46, v69, v7
	v_fma_f32 v57, v14, v7, -v8
	ds_read2_b32 v[7:8], v45 offset1:56
	ds_read2_b32 v[13:14], v45 offset0:112 offset1:168
	ds_read2_b32 v[17:18], v6 offset0:96 offset1:152
	;; [unrolled: 1-line block ×3, first 2 shown]
	s_waitcnt lgkmcnt(0)
	; wave barrier
	s_waitcnt lgkmcnt(0)
	ds_write2_b32 v59, v23, v11 offset1:4
	v_sub_f32_e32 v11, v24, v21
	v_and_or_b32 v23, v62, s4, v5
	v_fma_f32 v21, v24, 2.0, -v11
	v_lshl_add_u32 v61, v23, 2, 0
	s_movk_i32 s4, 0x1f8
	ds_write2_b32 v61, v21, v11 offset1:4
	v_sub_f32_e32 v11, v27, v26
	v_and_or_b32 v21, v15, s4, v5
	v_lshl_add_u32 v21, v21, 2, 0
	v_fma_f32 v23, v27, 2.0, -v11
	ds_write2_b32 v21, v23, v11 offset1:4
	v_sub_f32_e32 v11, v28, v35
	v_and_or_b32 v24, v50, s4, v5
	v_fma_f32 v23, v28, 2.0, -v11
	v_lshl_add_u32 v35, v24, 2, 0
	s_movk_i32 s4, 0x3f8
	ds_write2_b32 v35, v23, v11 offset1:4
	v_sub_f32_e32 v11, v31, v29
	v_and_or_b32 v23, v65, s4, v5
	v_lshl_add_u32 v63, v23, 2, 0
	v_fma_f32 v23, v31, 2.0, -v11
	ds_write2_b32 v63, v23, v11 offset1:4
	v_sub_f32_e32 v11, v32, v30
	v_and_or_b32 v24, v54, s5, v5
	v_fma_f32 v23, v32, 2.0, -v11
	v_lshl_add_u32 v64, v24, 2, 0
	ds_write2_b32 v64, v23, v11 offset1:4
	v_sub_f32_e32 v11, v39, v37
	v_and_or_b32 v23, v9, s4, v5
	v_lshl_add_u32 v66, v23, 2, 0
	v_fma_f32 v23, v39, 2.0, -v11
	ds_write2_b32 v66, v23, v11 offset1:4
	v_sub_f32_e32 v11, v40, v38
	v_and_or_b32 v24, v58, s4, v5
	v_fma_f32 v23, v40, 2.0, -v11
	v_lshl_add_u32 v67, v24, 2, 0
	ds_write2_b32 v67, v23, v11 offset1:4
	v_sub_f32_e32 v11, v41, v46
	v_and_or_b32 v5, v68, s4, v5
	v_fma_f32 v23, v41, 2.0, -v11
	v_lshl_add_u32 v5, v5, 2, 0
	ds_write2_b32 v5, v23, v11 offset1:4
	v_sub_f32_e32 v11, v7, v25
	v_fma_f32 v7, v7, 2.0, -v11
	s_waitcnt lgkmcnt(0)
	; wave barrier
	s_waitcnt lgkmcnt(0)
	ds_read_b32 v41, v4
	ds_read_b32 v69, v45 offset:3808
	ds_read2_b32 v[23:24], v45 offset1:56
	ds_read2_b32 v[25:26], v12 offset0:120 offset1:176
	ds_read2_b32 v[27:28], v45 offset0:112 offset1:168
	;; [unrolled: 1-line block ×7, first 2 shown]
	s_waitcnt lgkmcnt(0)
	; wave barrier
	s_waitcnt lgkmcnt(0)
	ds_write2_b32 v59, v7, v11 offset1:4
	v_sub_f32_e32 v7, v8, v33
	v_fma_f32 v8, v8, 2.0, -v7
	ds_write2_b32 v61, v8, v7 offset1:4
	v_sub_f32_e32 v7, v13, v48
	v_fma_f32 v8, v13, 2.0, -v7
	;; [unrolled: 3-line block ×8, first 2 shown]
	v_and_b32_e32 v11, 7, v0
	ds_write2_b32 v5, v8, v7 offset1:4
	v_lshlrev_b32_e32 v5, 3, v11
	s_waitcnt lgkmcnt(0)
	; wave barrier
	s_waitcnt lgkmcnt(0)
	global_load_dwordx2 v[7:8], v5, s[8:9] offset:48
	ds_read2_b32 v[13:14], v12 offset0:120 offset1:176
	ds_read2_b32 v[17:18], v34 offset0:104 offset1:160
	s_movk_i32 s4, 0x70
	v_and_or_b32 v48, v60, s4, v11
	ds_read_b32 v61, v4
	v_lshl_add_u32 v60, v48, 2, 0
	s_movk_i32 s4, 0xf0
	s_movk_i32 s5, 0x2f0
	s_waitcnt vmcnt(0)
	v_mul_f32_e32 v20, v25, v8
	v_mul_f32_e32 v21, v26, v8
	s_waitcnt lgkmcnt(2)
	v_mul_f32_e32 v5, v13, v8
	v_mul_f32_e32 v19, v14, v8
	v_fma_f32 v20, v13, v7, -v20
	v_fma_f32 v21, v14, v7, -v21
	ds_read2_b32 v[13:14], v42 offset0:88 offset1:144
	v_fmac_f32_e32 v5, v25, v7
	v_fmac_f32_e32 v19, v26, v7
	s_waitcnt lgkmcnt(2)
	v_mul_f32_e32 v25, v17, v8
	v_mul_f32_e32 v26, v18, v8
	v_fmac_f32_e32 v25, v29, v7
	v_fmac_f32_e32 v26, v30, v7
	v_mul_f32_e32 v29, v29, v8
	v_mul_f32_e32 v30, v30, v8
	v_fma_f32 v33, v17, v7, -v29
	v_fma_f32 v35, v18, v7, -v30
	s_waitcnt lgkmcnt(0)
	v_mul_f32_e32 v30, v14, v8
	ds_read2_b32 v[17:18], v43 offset0:72 offset1:128
	v_fmac_f32_e32 v30, v38, v7
	v_mul_f32_e32 v38, v38, v8
	v_fma_f32 v56, v14, v7, -v38
	ds_read_b32 v14, v45 offset:3808
	v_mul_f32_e32 v29, v13, v8
	v_fmac_f32_e32 v29, v37, v7
	v_mul_f32_e32 v37, v37, v8
	v_fma_f32 v55, v13, v7, -v37
	s_waitcnt lgkmcnt(1)
	v_mul_f32_e32 v37, v17, v8
	v_mul_f32_e32 v38, v18, v8
	v_fmac_f32_e32 v37, v46, v7
	v_fmac_f32_e32 v38, v47, v7
	v_mul_f32_e32 v13, v46, v8
	v_mul_f32_e32 v46, v47, v8
	v_sub_f32_e32 v47, v23, v5
	v_fma_f32 v59, v18, v7, -v46
	s_waitcnt lgkmcnt(0)
	v_mul_f32_e32 v46, v14, v8
	v_mul_f32_e32 v4, v69, v8
	v_fma_f32 v23, v23, 2.0, -v47
	v_sub_f32_e32 v19, v24, v19
	v_fma_f32 v57, v17, v7, -v13
	v_fmac_f32_e32 v46, v69, v7
	v_fma_f32 v63, v14, v7, -v4
	ds_read2_b32 v[4:5], v45 offset1:56
	ds_read2_b32 v[7:8], v45 offset0:112 offset1:168
	ds_read2_b32 v[13:14], v6 offset0:96 offset1:152
	;; [unrolled: 1-line block ×3, first 2 shown]
	s_waitcnt lgkmcnt(0)
	; wave barrier
	s_waitcnt lgkmcnt(0)
	ds_write2_b32 v60, v23, v47 offset1:8
	v_fma_f32 v23, v24, 2.0, -v19
	v_and_or_b32 v24, v62, s4, v11
	v_lshl_add_u32 v24, v24, 2, 0
	s_movk_i32 s4, 0x1f0
	ds_write2_b32 v24, v23, v19 offset1:8
	v_sub_f32_e32 v19, v27, v25
	v_and_or_b32 v15, v15, s4, v11
	v_lshl_add_u32 v15, v15, 2, 0
	v_fma_f32 v23, v27, 2.0, -v19
	ds_write2_b32 v15, v23, v19 offset1:8
	v_sub_f32_e32 v19, v28, v26
	v_and_or_b32 v25, v50, s4, v11
	v_fma_f32 v23, v28, 2.0, -v19
	v_lshl_add_u32 v25, v25, 2, 0
	s_movk_i32 s4, 0x3f0
	ds_write2_b32 v25, v23, v19 offset1:8
	v_sub_f32_e32 v19, v31, v29
	v_and_or_b32 v23, v65, s4, v11
	v_lshl_add_u32 v23, v23, 2, 0
	v_fma_f32 v26, v31, 2.0, -v19
	ds_write2_b32 v23, v26, v19 offset1:8
	v_sub_f32_e32 v19, v32, v30
	v_and_or_b32 v27, v54, s5, v11
	v_fma_f32 v26, v32, 2.0, -v19
	v_lshl_add_u32 v54, v27, 2, 0
	ds_write2_b32 v54, v26, v19 offset1:8
	v_sub_f32_e32 v19, v39, v37
	v_and_or_b32 v9, v9, s4, v11
	v_lshl_add_u32 v9, v9, 2, 0
	v_fma_f32 v26, v39, 2.0, -v19
	ds_write2_b32 v9, v26, v19 offset1:8
	v_sub_f32_e32 v19, v40, v38
	v_and_or_b32 v27, v58, s4, v11
	v_fma_f32 v26, v40, 2.0, -v19
	v_lshl_add_u32 v58, v27, 2, 0
	ds_write2_b32 v58, v26, v19 offset1:8
	v_sub_f32_e32 v19, v4, v20
	v_sub_f32_e32 v20, v41, v46
	v_and_or_b32 v11, v68, s4, v11
	v_fma_f32 v26, v41, 2.0, -v20
	v_lshl_add_u32 v11, v11, 2, 0
	v_fma_f32 v4, v4, 2.0, -v19
	ds_write2_b32 v11, v26, v20 offset1:8
	s_waitcnt lgkmcnt(0)
	; wave barrier
	s_waitcnt lgkmcnt(0)
	ds_read2_b32 v[27:28], v45 offset1:56
	ds_read2_b32 v[29:30], v36 offset0:80 offset1:136
	ds_read2_b32 v[31:32], v34 offset0:160 offset1:216
	;; [unrolled: 1-line block ×8, first 2 shown]
	s_waitcnt lgkmcnt(0)
	; wave barrier
	s_waitcnt lgkmcnt(0)
	ds_write2_b32 v60, v4, v19 offset1:8
	v_sub_f32_e32 v4, v5, v21
	v_fma_f32 v5, v5, 2.0, -v4
	ds_write2_b32 v24, v5, v4 offset1:8
	v_sub_f32_e32 v4, v7, v33
	v_fma_f32 v5, v7, 2.0, -v4
	ds_write2_b32 v15, v5, v4 offset1:8
	v_sub_f32_e32 v4, v8, v35
	v_fma_f32 v5, v8, 2.0, -v4
	ds_write2_b32 v25, v5, v4 offset1:8
	v_sub_f32_e32 v4, v13, v55
	v_fma_f32 v5, v13, 2.0, -v4
	ds_write2_b32 v23, v5, v4 offset1:8
	v_sub_f32_e32 v4, v14, v56
	v_fma_f32 v5, v14, 2.0, -v4
	v_sub_f32_e32 v7, v17, v57
	v_sub_f32_e32 v8, v18, v59
	;; [unrolled: 1-line block ×3, first 2 shown]
	v_fma_f32 v13, v17, 2.0, -v7
	v_fma_f32 v14, v18, 2.0, -v8
	;; [unrolled: 1-line block ×3, first 2 shown]
	ds_write2_b32 v54, v5, v4 offset1:8
	ds_write2_b32 v9, v13, v7 offset1:8
	;; [unrolled: 1-line block ×4, first 2 shown]
	v_and_b32_e32 v9, 15, v22
	v_lshlrev_b32_e32 v4, 4, v9
	s_waitcnt lgkmcnt(0)
	; wave barrier
	s_waitcnt lgkmcnt(0)
	global_load_dwordx4 v[17:20], v4, s[8:9] offset:112
	v_and_b32_e32 v11, 15, v0
	v_lshlrev_b32_e32 v4, 4, v11
	global_load_dwordx4 v[23:26], v4, s[8:9] offset:112
	v_and_b32_e32 v15, 15, v10
	v_lshlrev_b32_e32 v21, 4, v15
	global_load_dword v33, v21, s[8:9] offset:124
	global_load_dwordx2 v[4:5], v21, s[8:9] offset:120
	global_load_dwordx2 v[7:8], v21, s[8:9] offset:116
	;; [unrolled: 1-line block ×3, first 2 shown]
	v_and_b32_e32 v21, 15, v1
	v_lshlrev_b32_e32 v35, 4, v21
	global_load_dword v35, v35, s[8:9] offset:112
	ds_read2_b32 v[54:55], v36 offset0:192 offset1:248
	ds_read2_b32 v[56:57], v43 offset0:16 offset1:72
	s_movk_i32 s4, 0xab
	s_waitcnt vmcnt(6) lgkmcnt(1)
	v_mul_f32_e32 v41, v55, v18
	v_mul_f32_e32 v18, v40, v18
	v_fmac_f32_e32 v41, v40, v17
	v_fma_f32 v55, v55, v17, -v18
	v_mul_f32_e32 v17, v47, v20
	s_waitcnt lgkmcnt(0)
	v_mul_f32_e32 v58, v57, v20
	v_fma_f32 v57, v57, v19, -v17
	s_waitcnt vmcnt(5)
	v_mul_f32_e32 v17, v39, v24
	v_mul_f32_e32 v59, v54, v24
	v_fma_f32 v54, v54, v23, -v17
	ds_read2_b32 v[17:18], v36 offset0:80 offset1:136
	v_fmac_f32_e32 v58, v47, v19
	v_mul_f32_e32 v19, v46, v26
	v_fmac_f32_e32 v59, v39, v23
	v_mul_f32_e32 v60, v56, v26
	v_fma_f32 v56, v56, v25, -v19
	ds_read2_b32 v[19:20], v34 offset0:160 offset1:216
	ds_read2_b32 v[39:40], v34 offset0:48 offset1:104
	v_fmac_f32_e32 v60, v46, v25
	ds_read2_b32 v[46:47], v43 offset0:128 offset1:184
	s_waitcnt lgkmcnt(3)
	v_mul_f32_e32 v61, v17, v24
	v_fmac_f32_e32 v61, v29, v23
	v_mul_f32_e32 v29, v29, v24
	v_fma_f32 v29, v17, v23, -v29
	v_mul_f32_e32 v17, v31, v26
	s_waitcnt lgkmcnt(2)
	v_mul_f32_e32 v62, v19, v26
	v_fma_f32 v19, v19, v25, -v17
	s_waitcnt lgkmcnt(1)
	v_mul_f32_e32 v63, v39, v24
	v_mul_f32_e32 v17, v50, v24
	v_fmac_f32_e32 v63, v50, v23
	v_fma_f32 v23, v39, v23, -v17
	s_waitcnt lgkmcnt(0)
	v_mul_f32_e32 v24, v46, v26
	v_mul_f32_e32 v17, v52, v26
	v_fmac_f32_e32 v62, v31, v25
	v_fmac_f32_e32 v24, v52, v25
	v_fma_f32 v25, v46, v25, -v17
	s_waitcnt vmcnt(4)
	v_mul_f32_e32 v26, v47, v33
	v_mul_f32_e32 v17, v53, v33
	s_waitcnt vmcnt(3)
	v_fmac_f32_e32 v26, v53, v4
	v_fma_f32 v33, v47, v4, -v17
	v_mul_f32_e32 v52, v20, v5
	v_mul_f32_e32 v4, v32, v5
	s_waitcnt vmcnt(2)
	v_fmac_f32_e32 v52, v32, v8
	v_fma_f32 v20, v20, v8, -v4
	v_mul_f32_e32 v53, v40, v7
	v_mul_f32_e32 v4, v51, v7
	v_lshrrev_b32_e32 v32, 4, v0
	s_waitcnt vmcnt(1)
	v_fmac_f32_e32 v53, v51, v13
	v_fma_f32 v51, v40, v13, -v4
	v_mul_f32_e32 v64, v18, v14
	v_mul_f32_e32 v4, v30, v14
	v_add_f32_e32 v5, v61, v62
	v_mul_u32_u24_e32 v32, 48, v32
	s_waitcnt vmcnt(0)
	v_fmac_f32_e32 v64, v30, v35
	v_fma_f32 v30, v18, v35, -v4
	v_add_f32_e32 v4, v27, v61
	v_fma_f32 v5, -0.5, v5, v27
	v_sub_f32_e32 v27, v29, v19
	v_or_b32_e32 v32, v32, v11
	v_mov_b32_e32 v31, v5
	v_lshl_add_u32 v35, v32, 2, 0
	v_fmac_f32_e32 v5, 0x3f5db3d7, v27
	ds_read2_b32 v[7:8], v45 offset1:56
	ds_read2_b32 v[13:14], v45 offset0:112 offset1:168
	ds_read2_b32 v[17:18], v6 offset0:96 offset1:152
	s_waitcnt lgkmcnt(0)
	; wave barrier
	s_waitcnt lgkmcnt(0)
	ds_write_b32 v35, v5 offset:128
	v_lshrrev_b32_e32 v5, 4, v1
	v_add_f32_e32 v4, v4, v62
	v_fmac_f32_e32 v31, 0xbf5db3d7, v27
	v_add_f32_e32 v27, v64, v52
	v_mul_u32_u24_e32 v5, 48, v5
	ds_write2_b32 v35, v4, v31 offset1:16
	v_add_f32_e32 v4, v28, v64
	v_fmac_f32_e32 v28, -0.5, v27
	v_or_b32_e32 v5, v5, v21
	v_sub_f32_e32 v21, v30, v20
	v_mov_b32_e32 v27, v28
	v_lshl_add_u32 v65, v5, 2, 0
	v_fmac_f32_e32 v28, 0x3f5db3d7, v21
	ds_write_b32 v65, v28 offset:128
	v_lshrrev_b32_e32 v28, 4, v44
	v_add_f32_e32 v5, v59, v60
	v_mul_u32_u24_e32 v28, 48, v28
	v_add_f32_e32 v4, v4, v52
	v_fmac_f32_e32 v27, 0xbf5db3d7, v21
	v_fma_f32 v5, -0.5, v5, v37
	v_sub_f32_e32 v21, v54, v56
	v_or_b32_e32 v28, v28, v11
	ds_write2_b32 v65, v4, v27 offset1:16
	v_add_f32_e32 v4, v37, v59
	v_mov_b32_e32 v27, v5
	v_lshl_add_u32 v28, v28, 2, 0
	v_fmac_f32_e32 v5, 0x3f5db3d7, v21
	v_add_f32_e32 v4, v4, v60
	v_fmac_f32_e32 v27, 0xbf5db3d7, v21
	v_add_f32_e32 v21, v41, v58
	ds_write_b32 v28, v5 offset:128
	v_lshrrev_b32_e32 v5, 4, v22
	ds_write2_b32 v28, v4, v27 offset1:16
	v_add_f32_e32 v4, v38, v41
	v_fmac_f32_e32 v38, -0.5, v21
	v_mul_u32_u24_e32 v5, 48, v5
	v_or_b32_e32 v5, v5, v9
	v_sub_f32_e32 v9, v55, v57
	v_mov_b32_e32 v21, v38
	v_add_f32_e32 v4, v4, v58
	v_fmac_f32_e32 v21, 0xbf5db3d7, v9
	v_lshl_add_u32 v27, v5, 2, 0
	ds_write2_b32 v27, v4, v21 offset1:16
	v_fmac_f32_e32 v38, 0x3f5db3d7, v9
	v_lshrrev_b32_e32 v4, 4, v16
	v_add_f32_e32 v9, v63, v24
	v_mul_u32_u24_e32 v4, 48, v4
	v_fma_f32 v9, -0.5, v9, v48
	v_or_b32_e32 v4, v4, v11
	v_add_f32_e32 v5, v48, v63
	v_sub_f32_e32 v11, v23, v25
	v_mov_b32_e32 v21, v9
	v_add_f32_e32 v5, v5, v24
	v_fmac_f32_e32 v21, 0xbf5db3d7, v11
	v_lshl_add_u32 v37, v4, 2, 0
	ds_write_b32 v27, v38 offset:128
	ds_write2_b32 v37, v5, v21 offset1:16
	v_add_f32_e32 v5, v53, v26
	v_add_f32_e32 v4, v49, v53
	v_fmac_f32_e32 v49, -0.5, v5
	v_lshrrev_b32_e32 v5, 4, v10
	v_fmac_f32_e32 v9, 0x3f5db3d7, v11
	v_mul_u32_u24_e32 v5, 48, v5
	ds_write_b32 v37, v9 offset:128
	v_or_b32_e32 v5, v5, v15
	v_sub_f32_e32 v9, v51, v33
	v_mov_b32_e32 v11, v49
	v_add_f32_e32 v4, v4, v26
	v_fmac_f32_e32 v11, 0xbf5db3d7, v9
	v_lshl_add_u32 v15, v5, 2, 0
	ds_write2_b32 v15, v4, v11 offset1:16
	v_add_f32_e32 v4, v7, v29
	v_fmac_f32_e32 v49, 0x3f5db3d7, v9
	v_add_f32_e32 v9, v4, v19
	v_add_f32_e32 v4, v29, v19
	v_fma_f32 v7, -0.5, v4, v7
	v_sub_f32_e32 v11, v61, v62
	v_mov_b32_e32 v19, v7
	v_fmac_f32_e32 v19, 0x3f5db3d7, v11
	ds_write_b32 v15, v49 offset:128
	s_waitcnt lgkmcnt(0)
	; wave barrier
	s_waitcnt lgkmcnt(0)
	ds_read2_b32 v[66:67], v45 offset1:56
	ds_read2_b32 v[31:32], v36 offset0:80 offset1:136
	ds_read2_b32 v[39:40], v34 offset0:160 offset1:216
	;; [unrolled: 1-line block ×8, first 2 shown]
	s_waitcnt lgkmcnt(0)
	; wave barrier
	s_waitcnt lgkmcnt(0)
	ds_write2_b32 v35, v9, v19 offset1:16
	v_fmac_f32_e32 v7, 0xbf5db3d7, v11
	v_add_f32_e32 v9, v30, v20
	ds_write_b32 v35, v7 offset:128
	v_add_f32_e32 v7, v8, v30
	v_fmac_f32_e32 v8, -0.5, v9
	v_sub_f32_e32 v9, v64, v52
	v_mov_b32_e32 v11, v8
	v_fmac_f32_e32 v8, 0xbf5db3d7, v9
	ds_write_b32 v65, v8 offset:128
	v_add_f32_e32 v8, v54, v56
	v_add_f32_e32 v7, v7, v20
	v_fmac_f32_e32 v11, 0x3f5db3d7, v9
	v_sub_f32_e32 v9, v59, v60
	v_fma_f32 v8, -0.5, v8, v13
	ds_write2_b32 v65, v7, v11 offset1:16
	v_add_f32_e32 v7, v13, v54
	v_mov_b32_e32 v11, v8
	v_fmac_f32_e32 v8, 0xbf5db3d7, v9
	v_add_f32_e32 v7, v7, v56
	v_fmac_f32_e32 v11, 0x3f5db3d7, v9
	ds_write_b32 v28, v8 offset:128
	v_add_f32_e32 v8, v55, v57
	ds_write2_b32 v28, v7, v11 offset1:16
	v_add_f32_e32 v7, v14, v55
	v_fmac_f32_e32 v14, -0.5, v8
	v_sub_f32_e32 v8, v41, v58
	v_mov_b32_e32 v9, v14
	v_fmac_f32_e32 v9, 0x3f5db3d7, v8
	v_fmac_f32_e32 v14, 0xbf5db3d7, v8
	v_add_f32_e32 v8, v23, v25
	v_add_f32_e32 v7, v7, v57
	v_fma_f32 v8, -0.5, v8, v17
	ds_write2_b32 v27, v7, v9 offset1:16
	v_sub_f32_e32 v9, v63, v24
	v_mov_b32_e32 v11, v8
	v_add_f32_e32 v13, v51, v33
	v_add_f32_e32 v7, v17, v23
	v_fmac_f32_e32 v11, 0x3f5db3d7, v9
	v_fmac_f32_e32 v8, 0xbf5db3d7, v9
	v_add_f32_e32 v9, v18, v51
	v_fmac_f32_e32 v18, -0.5, v13
	v_add_f32_e32 v7, v7, v25
	v_sub_f32_e32 v13, v53, v26
	v_mov_b32_e32 v17, v18
	v_add_f32_e32 v9, v9, v33
	v_fmac_f32_e32 v17, 0x3f5db3d7, v13
	v_fmac_f32_e32 v18, 0xbf5db3d7, v13
	ds_write_b32 v27, v14 offset:128
	ds_write2_b32 v37, v7, v11 offset1:16
	ds_write_b32 v37, v8 offset:128
	ds_write2_b32 v15, v9, v17 offset1:16
	ds_write_b32 v15, v18 offset:128
	v_subrev_u32_e32 v7, 48, v0
	v_cndmask_b32_e32 v11, v7, v0, vcc
	v_lshlrev_b32_e32 v7, 1, v11
	v_mov_b32_e32 v8, 0
	v_lshlrev_b64 v[7:8], 3, v[7:8]
	v_mov_b32_e32 v9, s9
	v_add_co_u32_e32 v7, vcc, s8, v7
	v_addc_co_u32_e32 v8, vcc, v9, v8, vcc
	s_waitcnt lgkmcnt(0)
	; wave barrier
	s_waitcnt lgkmcnt(0)
	global_load_dwordx4 v[17:20], v[7:8], off offset:368
	v_mul_lo_u16_sdwa v7, v1, s4 dst_sel:DWORD dst_unused:UNUSED_PAD src0_sel:BYTE_0 src1_sel:DWORD
	v_lshrrev_b16_e32 v74, 13, v7
	v_mul_lo_u16_e32 v7, 48, v74
	v_sub_u16_e32 v75, v1, v7
	v_mov_b32_e32 v7, 4
	v_lshlrev_b32_sdwa v8, v7, v75 dst_sel:DWORD dst_unused:UNUSED_PAD src0_sel:DWORD src1_sel:BYTE_0
	global_load_dwordx4 v[23:26], v8, s[8:9] offset:368
	v_mul_lo_u16_sdwa v8, v44, s4 dst_sel:DWORD dst_unused:UNUSED_PAD src0_sel:BYTE_0 src1_sel:DWORD
	v_lshrrev_b16_e32 v76, 13, v8
	v_mul_lo_u16_e32 v8, 48, v76
	v_sub_u16_e32 v77, v44, v8
	v_lshlrev_b32_sdwa v8, v7, v77 dst_sel:DWORD dst_unused:UNUSED_PAD src0_sel:DWORD src1_sel:BYTE_0
	global_load_dwordx4 v[27:30], v8, s[8:9] offset:368
	v_mul_lo_u16_sdwa v8, v22, s4 dst_sel:DWORD dst_unused:UNUSED_PAD src0_sel:BYTE_0 src1_sel:DWORD
	v_lshrrev_b16_e32 v78, 13, v8
	v_mul_lo_u16_e32 v8, 48, v78
	v_sub_u16_e32 v79, v22, v8
	v_lshlrev_b32_sdwa v7, v7, v79 dst_sel:DWORD dst_unused:UNUSED_PAD src0_sel:DWORD src1_sel:BYTE_0
	s_mov_b32 s4, 0xaaab
	global_load_dwordx4 v[62:65], v7, s[8:9] offset:368
	v_mul_u32_u24_sdwa v7, v16, s4 dst_sel:DWORD dst_unused:UNUSED_PAD src0_sel:WORD_0 src1_sel:DWORD
	v_lshrrev_b32_e32 v80, 21, v7
	v_mul_lo_u16_e32 v7, 48, v80
	v_sub_u16_e32 v81, v16, v7
	v_lshlrev_b32_e32 v7, 4, v81
	global_load_dwordx4 v[13:16], v7, s[8:9] offset:368
	v_mul_u32_u24_sdwa v7, v10, s4 dst_sel:DWORD dst_unused:UNUSED_PAD src0_sel:WORD_0 src1_sel:DWORD
	v_lshrrev_b32_e32 v82, 21, v7
	v_mul_lo_u16_e32 v7, 48, v82
	v_sub_u16_e32 v83, v10, v7
	v_lshlrev_b32_e32 v7, 4, v83
	global_load_dwordx4 v[7:10], v7, s[8:9] offset:368
	ds_read2_b32 v[21:22], v36 offset0:80 offset1:136
	ds_read2_b32 v[53:54], v34 offset0:160 offset1:216
	v_cmp_lt_u32_e32 vcc, 47, v0
	s_waitcnt vmcnt(5) lgkmcnt(1)
	v_mul_f32_e32 v38, v21, v18
	v_mul_f32_e32 v18, v31, v18
	v_fmac_f32_e32 v38, v31, v17
	v_fma_f32 v55, v21, v17, -v18
	v_mul_f32_e32 v17, v39, v20
	s_waitcnt lgkmcnt(0)
	v_mul_f32_e32 v52, v53, v20
	v_fma_f32 v60, v53, v19, -v17
	s_waitcnt vmcnt(4)
	v_mul_f32_e32 v17, v32, v24
	v_fmac_f32_e32 v52, v39, v19
	v_fma_f32 v53, v22, v23, -v17
	ds_read2_b32 v[17:18], v36 offset0:192 offset1:248
	v_mul_f32_e32 v19, v40, v26
	v_fma_f32 v61, v54, v25, -v19
	ds_read2_b32 v[19:20], v43 offset0:16 offset1:72
	s_waitcnt vmcnt(3)
	v_mul_f32_e32 v21, v46, v28
	v_mul_f32_e32 v41, v54, v26
	s_waitcnt lgkmcnt(1)
	v_mul_f32_e32 v37, v17, v28
	v_fma_f32 v54, v17, v27, -v21
	v_mul_f32_e32 v17, v49, v30
	v_mul_f32_e32 v33, v22, v24
	s_waitcnt lgkmcnt(0)
	v_mul_f32_e32 v48, v19, v30
	v_fma_f32 v57, v19, v29, -v17
	s_waitcnt vmcnt(2)
	v_mul_f32_e32 v17, v47, v63
	v_fmac_f32_e32 v33, v32, v23
	v_fmac_f32_e32 v48, v49, v29
	v_mul_f32_e32 v32, v18, v63
	v_fma_f32 v49, v18, v62, -v17
	ds_read2_b32 v[17:18], v34 offset0:48 offset1:104
	v_mul_f32_e32 v19, v50, v65
	v_mul_f32_e32 v39, v20, v65
	v_fma_f32 v58, v20, v64, -v19
	ds_read2_b32 v[19:20], v43 offset0:128 offset1:184
	s_waitcnt vmcnt(1) lgkmcnt(1)
	v_mul_f32_e32 v35, v17, v14
	v_mul_f32_e32 v14, v70, v14
	v_fmac_f32_e32 v32, v47, v62
	v_fmac_f32_e32 v39, v50, v64
	;; [unrolled: 1-line block ×3, first 2 shown]
	v_fma_f32 v50, v17, v13, -v14
	s_waitcnt lgkmcnt(0)
	v_mul_f32_e32 v47, v19, v16
	v_mul_f32_e32 v13, v72, v16
	v_fmac_f32_e32 v47, v72, v15
	v_fma_f32 v56, v19, v15, -v13
	s_waitcnt vmcnt(0)
	v_mul_f32_e32 v15, v18, v8
	v_mul_f32_e32 v8, v71, v8
	v_fmac_f32_e32 v15, v71, v7
	v_fma_f32 v51, v18, v7, -v8
	v_mul_f32_e32 v7, v73, v10
	v_fma_f32 v59, v20, v9, -v7
	v_mov_b32_e32 v7, 0x240
	v_cndmask_b32_e32 v7, 0, v7, vcc
	v_lshlrev_b32_e32 v8, 2, v11
	v_add3_u32 v62, 0, v7, v8
	v_add_f32_e32 v7, v66, v38
	v_fmac_f32_e32 v41, v40, v25
	v_mul_f32_e32 v40, v20, v10
	v_add_f32_e32 v8, v7, v52
	v_add_f32_e32 v7, v38, v52
	v_fmac_f32_e32 v40, v73, v9
	v_fma_f32 v9, -0.5, v7, v66
	v_sub_f32_e32 v10, v55, v60
	v_mov_b32_e32 v11, v9
	v_fmac_f32_e32 v11, 0xbf5db3d7, v10
	v_fmac_f32_e32 v9, 0x3f5db3d7, v10
	v_add_f32_e32 v10, v33, v41
	ds_read2_b32 v[6:7], v6 offset0:96 offset1:152
	ds_read2_b32 v[30:31], v45 offset1:56
	ds_read2_b32 v[13:14], v45 offset0:112 offset1:168
	s_waitcnt lgkmcnt(0)
	; wave barrier
	s_waitcnt lgkmcnt(0)
	ds_write2_b32 v62, v8, v11 offset1:48
	v_add_f32_e32 v8, v67, v33
	v_fmac_f32_e32 v67, -0.5, v10
	v_mov_b32_e32 v10, 2
	ds_write_b32 v62, v9 offset:384
	v_mul_u32_u24_e32 v9, 0x240, v74
	v_lshlrev_b32_sdwa v11, v10, v75 dst_sel:DWORD dst_unused:UNUSED_PAD src0_sel:DWORD src1_sel:BYTE_0
	v_add3_u32 v63, 0, v9, v11
	v_sub_f32_e32 v9, v53, v61
	v_mov_b32_e32 v11, v67
	v_add_f32_e32 v8, v8, v41
	v_fmac_f32_e32 v11, 0xbf5db3d7, v9
	v_fmac_f32_e32 v37, v46, v27
	ds_write2_b32 v63, v8, v11 offset1:48
	v_fmac_f32_e32 v67, 0x3f5db3d7, v9
	v_mul_u32_u24_e32 v8, 0x240, v76
	v_lshlrev_b32_sdwa v9, v10, v77 dst_sel:DWORD dst_unused:UNUSED_PAD src0_sel:DWORD src1_sel:BYTE_0
	v_add3_u32 v64, 0, v8, v9
	v_add_f32_e32 v9, v37, v48
	v_fma_f32 v9, -0.5, v9, v68
	v_add_f32_e32 v8, v68, v37
	v_sub_f32_e32 v11, v54, v57
	v_mov_b32_e32 v16, v9
	v_add_f32_e32 v8, v8, v48
	v_fmac_f32_e32 v16, 0xbf5db3d7, v11
	v_fmac_f32_e32 v9, 0x3f5db3d7, v11
	v_add_f32_e32 v11, v32, v39
	ds_write_b32 v63, v67 offset:384
	ds_write2_b32 v64, v8, v16 offset1:48
	v_add_f32_e32 v8, v69, v32
	v_fmac_f32_e32 v69, -0.5, v11
	ds_write_b32 v64, v9 offset:384
	v_lshlrev_b32_sdwa v9, v10, v79 dst_sel:DWORD dst_unused:UNUSED_PAD src0_sel:DWORD src1_sel:BYTE_0
	v_mul_u32_u24_e32 v10, 0x240, v78
	v_add3_u32 v65, 0, v10, v9
	v_sub_f32_e32 v9, v49, v58
	v_mov_b32_e32 v10, v69
	v_add_f32_e32 v8, v8, v39
	v_fmac_f32_e32 v10, 0xbf5db3d7, v9
	ds_write2_b32 v65, v8, v10 offset1:48
	v_fmac_f32_e32 v69, 0x3f5db3d7, v9
	v_mul_u32_u24_e32 v8, 0x240, v80
	v_lshlrev_b32_e32 v9, 2, v81
	v_add3_u32 v66, 0, v8, v9
	v_add_f32_e32 v8, v4, v35
	v_add_f32_e32 v9, v8, v47
	v_add_f32_e32 v8, v35, v47
	v_fma_f32 v8, -0.5, v8, v4
	v_sub_f32_e32 v4, v50, v56
	v_mov_b32_e32 v10, v8
	v_fmac_f32_e32 v10, 0xbf5db3d7, v4
	v_fmac_f32_e32 v8, 0x3f5db3d7, v4
	v_add_f32_e32 v4, v5, v15
	ds_write_b32 v65, v69 offset:384
	ds_write2_b32 v66, v9, v10 offset1:48
	v_add_f32_e32 v9, v4, v40
	v_add_f32_e32 v4, v15, v40
	v_fmac_f32_e32 v5, -0.5, v4
	v_mov_b32_e32 v4, v5
	v_sub_f32_e32 v10, v51, v59
	v_fmac_f32_e32 v4, 0xbf5db3d7, v10
	v_fmac_f32_e32 v5, 0x3f5db3d7, v10
	v_mul_u32_u24_e32 v10, 0x240, v82
	v_lshlrev_b32_e32 v11, 2, v83
	v_add3_u32 v67, 0, v10, v11
	ds_write_b32 v66, v8 offset:384
	ds_write2_b32 v67, v9, v4 offset1:48
	ds_write_b32 v67, v5 offset:384
	s_waitcnt lgkmcnt(0)
	; wave barrier
	s_waitcnt lgkmcnt(0)
	ds_read2_b32 v[16:17], v45 offset1:56
	ds_read2_b32 v[26:27], v45 offset0:144 offset1:200
	ds_read2_b32 v[18:19], v36 offset0:32 offset1:88
	;; [unrolled: 1-line block ×6, first 2 shown]
	v_cmp_gt_u32_e32 vcc, 32, v0
                                        ; implicit-def: $vgpr46
                                        ; implicit-def: $vgpr10
	s_and_saveexec_b64 s[4:5], vcc
	s_cbranch_execz .LBB0_15
; %bb.14:
	v_add_u32_e32 v4, 0x100, v45
	ds_read2_b32 v[8:9], v4 offset0:48 offset1:192
	ds_read2_b32 v[4:5], v12 offset0:16 offset1:160
	;; [unrolled: 1-line block ×3, first 2 shown]
	ds_read_b32 v46, v45 offset:3904
.LBB0_15:
	s_or_b64 exec, exec, s[4:5]
	v_add_f32_e32 v12, v30, v55
	v_add_f32_e32 v68, v12, v60
	v_add_f32_e32 v12, v55, v60
	v_fma_f32 v30, -0.5, v12, v30
	v_sub_f32_e32 v12, v38, v52
	v_mov_b32_e32 v38, v30
	v_fmac_f32_e32 v38, 0x3f5db3d7, v12
	v_fmac_f32_e32 v30, 0xbf5db3d7, v12
	v_add_f32_e32 v12, v31, v53
	v_add_f32_e32 v52, v12, v61
	v_add_f32_e32 v12, v53, v61
	v_fmac_f32_e32 v31, -0.5, v12
	v_sub_f32_e32 v12, v33, v41
	v_mov_b32_e32 v33, v31
	v_fmac_f32_e32 v33, 0x3f5db3d7, v12
	v_fmac_f32_e32 v31, 0xbf5db3d7, v12
	v_add_f32_e32 v12, v13, v54
	v_add_f32_e32 v41, v12, v57
	v_add_f32_e32 v12, v54, v57
	v_fma_f32 v53, -0.5, v12, v13
	v_sub_f32_e32 v12, v37, v48
	v_mov_b32_e32 v37, v53
	v_fmac_f32_e32 v37, 0x3f5db3d7, v12
	v_fmac_f32_e32 v53, 0xbf5db3d7, v12
	v_add_f32_e32 v12, v14, v49
	v_add_f32_e32 v48, v12, v58
	v_add_f32_e32 v12, v49, v58
	v_fmac_f32_e32 v14, -0.5, v12
	v_sub_f32_e32 v12, v32, v39
	v_mov_b32_e32 v32, v14
	v_fmac_f32_e32 v32, 0x3f5db3d7, v12
	v_fmac_f32_e32 v14, 0xbf5db3d7, v12
	v_add_f32_e32 v12, v6, v50
	v_add_f32_e32 v39, v12, v56
	v_add_f32_e32 v12, v50, v56
	v_fma_f32 v12, -0.5, v12, v6
	v_sub_f32_e32 v6, v35, v47
	v_mov_b32_e32 v35, v12
	v_fmac_f32_e32 v35, 0x3f5db3d7, v6
	v_fmac_f32_e32 v12, 0xbf5db3d7, v6
	v_add_f32_e32 v6, v7, v51
	v_add_f32_e32 v13, v6, v59
	v_add_f32_e32 v6, v51, v59
	v_fmac_f32_e32 v7, -0.5, v6
	v_sub_f32_e32 v15, v15, v40
	v_mov_b32_e32 v6, v7
	v_fmac_f32_e32 v6, 0x3f5db3d7, v15
	v_fmac_f32_e32 v7, 0xbf5db3d7, v15
	s_waitcnt lgkmcnt(0)
	; wave barrier
	s_waitcnt lgkmcnt(0)
	ds_write2_b32 v62, v68, v38 offset1:48
	ds_write_b32 v62, v30 offset:384
	ds_write2_b32 v63, v52, v33 offset1:48
	ds_write_b32 v63, v31 offset:384
	;; [unrolled: 2-line block ×6, first 2 shown]
	s_waitcnt lgkmcnt(0)
	; wave barrier
	s_waitcnt lgkmcnt(0)
	ds_read2_b32 v[30:31], v45 offset1:56
	ds_read2_b32 v[40:41], v45 offset0:144 offset1:200
	ds_read2_b32 v[32:33], v36 offset0:32 offset1:88
	ds_read2_b32 v[38:39], v36 offset0:176 offset1:232
	ds_read2_b32 v[36:37], v34 offset0:64 offset1:120
	ds_read2_b32 v[34:35], v42 offset0:80 offset1:136
	ds_read2_b32 v[42:43], v43 offset0:96 offset1:152
                                        ; implicit-def: $vgpr14
                                        ; implicit-def: $vgpr47
	s_and_saveexec_b64 s[4:5], vcc
	s_cbranch_execz .LBB0_17
; %bb.16:
	v_add_u32_e32 v6, 0x100, v45
	ds_read2_b32 v[12:13], v6 offset0:48 offset1:192
	v_add_u32_e32 v6, 0x600, v45
	v_add_u32_e32 v14, 0xa00, v45
	ds_read2_b32 v[6:7], v6 offset0:16 offset1:160
	ds_read2_b32 v[14:15], v14 offset0:48 offset1:192
	ds_read_b32 v47, v45 offset:3904
.LBB0_17:
	s_or_b64 exec, exec, s[4:5]
	s_and_saveexec_b64 s[4:5], s[0:1]
	s_cbranch_execz .LBB0_20
; %bb.18:
	v_mul_u32_u24_e32 v1, 6, v1
	v_lshlrev_b32_e32 v1, 3, v1
	global_load_dwordx4 v[48:51], v1, s[8:9] offset:1136
	global_load_dwordx4 v[52:55], v1, s[8:9] offset:1168
	;; [unrolled: 1-line block ×3, first 2 shown]
	v_mul_u32_u24_e32 v1, 6, v0
	v_lshlrev_b32_e32 v1, 3, v1
	global_load_dwordx4 v[60:63], v1, s[8:9] offset:1136
	global_load_dwordx4 v[64:67], v1, s[8:9] offset:1168
	;; [unrolled: 1-line block ×3, first 2 shown]
	s_mov_b32 s5, 0xbf5ff5aa
	s_mov_b32 s4, 0x3eae86e6
	;; [unrolled: 1-line block ×4, first 2 shown]
	s_waitcnt vmcnt(5) lgkmcnt(5)
	v_mul_f32_e32 v1, v41, v49
	s_waitcnt vmcnt(4) lgkmcnt(0)
	v_mul_f32_e32 v45, v43, v55
	s_waitcnt vmcnt(3)
	v_mul_f32_e32 v72, v37, v59
	v_mul_f32_e32 v73, v39, v57
	;; [unrolled: 1-line block ×10, first 2 shown]
	v_fmac_f32_e32 v1, v27, v48
	v_fmac_f32_e32 v45, v29, v54
	;; [unrolled: 1-line block ×6, first 2 shown]
	v_fma_f32 v19, v43, v54, -v55
	v_fma_f32 v21, v41, v48, -v49
	;; [unrolled: 1-line block ×6, first 2 shown]
	v_sub_f32_e32 v33, v1, v45
	v_add_f32_e32 v39, v21, v19
	v_add_f32_e32 v41, v25, v23
	;; [unrolled: 1-line block ×5, first 2 shown]
	v_sub_f32_e32 v35, v72, v73
	v_sub_f32_e32 v37, v74, v75
	v_add_f32_e32 v45, v72, v73
	v_sub_f32_e32 v19, v21, v19
	v_sub_f32_e32 v21, v25, v23
	;; [unrolled: 1-line block ×4, first 2 shown]
	v_add_f32_e32 v49, v39, v43
	v_add_f32_e32 v53, v1, v52
	v_sub_f32_e32 v25, v33, v35
	v_sub_f32_e32 v27, v35, v37
	v_add_f32_e32 v29, v35, v37
	v_sub_f32_e32 v35, v39, v41
	v_sub_f32_e32 v50, v1, v45
	;; [unrolled: 1-line block ×4, first 2 shown]
	v_mul_f32_e32 v56, 0x3d64c772, v48
	v_add_f32_e32 v41, v41, v49
	v_add_f32_e32 v45, v45, v53
	v_sub_f32_e32 v54, v19, v21
	v_add_f32_e32 v21, v21, v23
	v_sub_f32_e32 v37, v37, v33
	v_mul_f32_e32 v27, 0x3f08b237, v27
	v_mul_f32_e32 v58, 0x3d64c772, v51
	;; [unrolled: 1-line block ×3, first 2 shown]
	v_mov_b32_e32 v51, v56
	v_add_f32_e32 v49, v31, v41
	v_add_f32_e32 v48, v17, v45
	;; [unrolled: 1-line block ×3, first 2 shown]
	v_mul_f32_e32 v33, 0x3f4a47b2, v35
	v_mul_f32_e32 v57, 0x3f4a47b2, v50
	v_add_f32_e32 v21, v19, v21
	v_mul_f32_e32 v53, 0xbf5ff5aa, v37
	v_mov_b32_e32 v72, v27
	v_mov_b32_e32 v31, v58
	;; [unrolled: 1-line block ×3, first 2 shown]
	v_fmac_f32_e32 v51, 0x3f4a47b2, v35
	v_mov_b32_e32 v35, v49
	v_mov_b32_e32 v73, v48
	v_sub_f32_e32 v39, v43, v39
	v_sub_f32_e32 v1, v52, v1
	;; [unrolled: 1-line block ×3, first 2 shown]
	v_fmac_f32_e32 v72, 0xbeae86e6, v25
	v_fmac_f32_e32 v31, 0x3f4a47b2, v50
	;; [unrolled: 1-line block ×5, first 2 shown]
	v_fma_f32 v25, v25, s4, -v53
	v_fma_f32 v33, v39, s6, -v33
	;; [unrolled: 1-line block ×3, first 2 shown]
	v_mul_f32_e32 v23, 0xbf5ff5aa, v19
	v_fma_f32 v39, v39, s7, -v56
	v_fma_f32 v27, v37, s5, -v27
	v_fma_f32 v19, v19, s5, -v59
	v_fma_f32 v1, v1, s7, -v58
	v_fmac_f32_e32 v72, 0xbee1c552, v29
	v_fmac_f32_e32 v17, 0xbee1c552, v21
	v_add_f32_e32 v41, v51, v35
	v_add_f32_e32 v31, v31, v73
	v_fmac_f32_e32 v25, 0xbee1c552, v29
	v_add_f32_e32 v33, v33, v35
	v_add_f32_e32 v35, v39, v35
	v_fmac_f32_e32 v27, 0xbee1c552, v29
	v_fmac_f32_e32 v19, 0xbee1c552, v21
	v_add_f32_e32 v1, v1, v73
	v_add_f32_e32 v51, v72, v41
	v_sub_f32_e32 v50, v31, v17
	v_add_f32_e32 v53, v25, v33
	v_add_f32_e32 v43, v43, v73
	v_fma_f32 v23, v54, s4, -v23
	v_sub_f32_e32 v55, v35, v27
	v_add_f32_e32 v54, v19, v1
	v_add_f32_e32 v57, v27, v35
	v_sub_f32_e32 v56, v1, v19
	v_sub_f32_e32 v59, v33, v25
	;; [unrolled: 1-line block ×3, first 2 shown]
	v_add_f32_e32 v72, v17, v31
	s_waitcnt vmcnt(2)
	v_mul_f32_e32 v1, v40, v61
	s_waitcnt vmcnt(1)
	v_mul_f32_e32 v17, v42, v67
	;; [unrolled: 2-line block ×3, first 2 shown]
	v_mul_f32_e32 v27, v38, v69
	v_mul_f32_e32 v31, v32, v63
	;; [unrolled: 1-line block ×3, first 2 shown]
	v_fmac_f32_e32 v1, v26, v60
	v_fmac_f32_e32 v17, v28, v66
	;; [unrolled: 1-line block ×7, first 2 shown]
	v_sub_f32_e32 v19, v1, v17
	v_sub_f32_e32 v21, v25, v27
	;; [unrolled: 1-line block ×4, first 2 shown]
	v_add_f32_e32 v58, v23, v43
	v_sub_f32_e32 v29, v19, v21
	v_sub_f32_e32 v23, v21, v35
	v_add_f32_e32 v21, v21, v35
	v_add_f32_e32 v41, v19, v21
	v_mul_f32_e32 v21, v28, v67
	v_fma_f32 v28, v42, v66, -v21
	v_mul_f32_e32 v21, v26, v61
	v_fma_f32 v26, v40, v60, -v21
	;; [unrolled: 2-line block ×3, first 2 shown]
	v_mul_f32_e32 v21, v22, v71
	v_mul_f32_e32 v20, v20, v65
	v_mul_f32_e32 v18, v18, v63
	v_fma_f32 v22, v36, v70, -v21
	v_fma_f32 v34, v34, v64, -v20
	;; [unrolled: 1-line block ×3, first 2 shown]
	v_add_f32_e32 v21, v22, v24
	v_add_f32_e32 v32, v18, v34
	v_sub_f32_e32 v20, v21, v32
	v_add_f32_e32 v40, v26, v28
	v_mul_f32_e32 v38, 0x3d64c772, v20
	v_mul_f32_e32 v37, 0x3f08b237, v23
	v_sub_f32_e32 v23, v40, v21
	v_mov_b32_e32 v20, v38
	v_mul_f32_e32 v36, 0x3f4a47b2, v23
	v_fmac_f32_e32 v20, 0x3f4a47b2, v23
	v_add_f32_e32 v23, v40, v32
	v_add_f32_e32 v23, v21, v23
	;; [unrolled: 1-line block ×6, first 2 shown]
	v_mov_b32_e32 v30, v21
	v_sub_f32_e32 v25, v17, v31
	v_fmac_f32_e32 v30, 0xbf955555, v23
	v_mul_f32_e32 v33, 0x3d64c772, v25
	v_add_f32_e32 v42, v20, v30
	v_sub_f32_e32 v20, v1, v17
	v_mov_b32_e32 v25, v33
	v_mul_f32_e32 v27, 0x3f4a47b2, v20
	v_fmac_f32_e32 v25, 0x3f4a47b2, v20
	v_add_f32_e32 v20, v1, v31
	v_add_f32_e32 v17, v17, v20
	;; [unrolled: 1-line block ×3, first 2 shown]
	v_mov_b32_e32 v16, v20
	v_fmac_f32_e32 v16, 0xbf955555, v17
	v_sub_f32_e32 v22, v22, v24
	v_sub_f32_e32 v18, v18, v34
	v_add_f32_e32 v17, v25, v16
	v_sub_f32_e32 v26, v26, v28
	v_sub_f32_e32 v25, v22, v18
	;; [unrolled: 1-line block ×3, first 2 shown]
	v_mov_b32_e32 v39, v37
	v_sub_f32_e32 v24, v26, v22
	v_mul_f32_e32 v28, 0x3f08b237, v25
	v_add_f32_e32 v22, v22, v18
	v_mul_f32_e32 v25, 0xbf5ff5aa, v19
	v_sub_f32_e32 v1, v31, v1
	v_sub_f32_e32 v18, v18, v26
	v_fmac_f32_e32 v39, 0xbeae86e6, v29
	v_add_f32_e32 v43, v26, v22
	v_fma_f32 v35, v29, s4, -v25
	v_sub_f32_e32 v29, v32, v40
	v_fma_f32 v27, v1, s6, -v27
	v_mul_f32_e32 v26, 0xbf5ff5aa, v18
	v_fma_f32 v18, v18, s5, -v28
	v_fma_f32 v1, v1, s7, -v33
	v_fma_f32 v40, v24, s4, -v26
	v_fma_f32 v26, v29, s7, -v38
	v_fma_f32 v19, v19, s5, -v37
	v_fmac_f32_e32 v18, 0xbee1c552, v43
	v_add_f32_e32 v1, v1, v16
	v_mov_b32_e32 v34, v28
	v_fma_f32 v25, v29, s6, -v36
	v_add_f32_e32 v36, v27, v16
	v_add_f32_e32 v29, v26, v30
	v_fmac_f32_e32 v19, 0xbee1c552, v41
	v_add_f32_e32 v26, v18, v1
	v_sub_f32_e32 v28, v1, v18
	v_mov_b32_e32 v1, 0
	v_mov_b32_e32 v16, s3
	v_add_co_u32_e64 v18, s[0:1], s2, v2
	v_sub_f32_e32 v27, v29, v19
	v_add_f32_e32 v29, v19, v29
	v_addc_co_u32_e64 v19, s[0:1], v16, v3, s[0:1]
	v_lshlrev_b64 v[2:3], 3, v[0:1]
	v_fmac_f32_e32 v34, 0xbeae86e6, v24
	v_fmac_f32_e32 v34, 0xbee1c552, v43
	v_fmac_f32_e32 v35, 0xbee1c552, v41
	v_add_f32_e32 v32, v25, v30
	v_add_co_u32_e64 v16, s[0:1], v18, v2
	v_sub_f32_e32 v22, v17, v34
	v_add_f32_e32 v25, v35, v32
	v_sub_f32_e32 v31, v32, v35
	v_add_f32_e32 v32, v34, v17
	v_addc_co_u32_e64 v17, s[0:1], v19, v3, s[0:1]
	s_movk_i32 s0, 0x1000
	v_add_co_u32_e64 v2, s[0:1], s0, v16
	v_fmac_f32_e32 v39, 0xbee1c552, v41
	v_fmac_f32_e32 v40, 0xbee1c552, v43
	v_addc_co_u32_e64 v3, s[0:1], 0, v17, s[0:1]
	v_add_f32_e32 v23, v39, v42
	v_sub_f32_e32 v24, v36, v40
	v_add_f32_e32 v30, v40, v36
	v_sub_f32_e32 v33, v42, v39
	global_store_dwordx2 v[16:17], v[20:21], off
	global_store_dwordx2 v[16:17], v[32:33], off offset:1152
	global_store_dwordx2 v[16:17], v[30:31], off offset:2304
	;; [unrolled: 1-line block ×13, first 2 shown]
	s_and_b64 exec, exec, vcc
	s_cbranch_execz .LBB0_20
; %bb.19:
	v_subrev_u32_e32 v20, 32, v0
	v_cndmask_b32_e32 v20, v20, v44, vcc
	v_mul_i32_i24_e32 v20, 6, v20
	v_mov_b32_e32 v21, v1
	v_lshlrev_b64 v[20:21], 3, v[20:21]
	v_mov_b32_e32 v22, s9
	v_add_co_u32_e32 v32, vcc, s8, v20
	v_addc_co_u32_e32 v33, vcc, v22, v21, vcc
	global_load_dwordx4 v[20:23], v[32:33], off offset:1136
	global_load_dwordx4 v[24:27], v[32:33], off offset:1152
	;; [unrolled: 1-line block ×3, first 2 shown]
	s_waitcnt vmcnt(2)
	v_mul_f32_e32 v32, v13, v21
	v_mul_f32_e32 v21, v9, v21
	;; [unrolled: 1-line block ×4, first 2 shown]
	s_waitcnt vmcnt(1)
	v_mul_f32_e32 v34, v7, v25
	v_mul_f32_e32 v25, v5, v25
	;; [unrolled: 1-line block ×3, first 2 shown]
	s_waitcnt vmcnt(0)
	v_mul_f32_e32 v36, v15, v29
	v_mul_f32_e32 v29, v11, v29
	;; [unrolled: 1-line block ×5, first 2 shown]
	v_fmac_f32_e32 v32, v9, v20
	v_fma_f32 v9, v13, v20, -v21
	v_fmac_f32_e32 v33, v4, v22
	v_fma_f32 v4, v6, v22, -v23
	v_fmac_f32_e32 v34, v5, v24
	v_fma_f32 v5, v7, v24, -v25
	v_fmac_f32_e32 v35, v10, v26
	v_fmac_f32_e32 v36, v11, v28
	v_fma_f32 v7, v15, v28, -v29
	v_fmac_f32_e32 v37, v46, v30
	v_fma_f32 v10, v47, v30, -v31
	v_fma_f32 v6, v14, v26, -v27
	v_add_f32_e32 v11, v32, v37
	v_add_f32_e32 v13, v9, v10
	v_sub_f32_e32 v9, v9, v10
	v_add_f32_e32 v10, v33, v36
	v_add_f32_e32 v15, v4, v7
	v_sub_f32_e32 v4, v4, v7
	;; [unrolled: 3-line block ×4, first 2 shown]
	v_sub_f32_e32 v20, v33, v36
	v_sub_f32_e32 v22, v35, v34
	v_sub_f32_e32 v24, v10, v11
	v_sub_f32_e32 v25, v15, v13
	v_sub_f32_e32 v11, v11, v7
	v_sub_f32_e32 v10, v7, v10
	v_sub_f32_e32 v15, v21, v15
	v_add_f32_e32 v6, v7, v6
	v_add_f32_e32 v7, v21, v23
	v_sub_f32_e32 v13, v13, v21
	v_add_f32_e32 v26, v22, v20
	v_add_f32_e32 v27, v5, v4
	v_sub_f32_e32 v28, v22, v20
	v_sub_f32_e32 v29, v5, v4
	;; [unrolled: 1-line block ×5, first 2 shown]
	v_mul_f32_e32 v11, 0x3f4a47b2, v11
	v_mul_f32_e32 v21, 0x3d64c772, v10
	;; [unrolled: 1-line block ×3, first 2 shown]
	v_add_f32_e32 v4, v8, v6
	v_add_f32_e32 v5, v12, v7
	v_sub_f32_e32 v22, v14, v22
	v_add_f32_e32 v14, v26, v14
	v_add_f32_e32 v9, v27, v9
	v_mul_f32_e32 v13, 0x3f4a47b2, v13
	v_mul_f32_e32 v26, 0x3f08b237, v28
	;; [unrolled: 1-line block ×5, first 2 shown]
	v_fma_f32 v8, v24, s7, -v21
	v_fma_f32 v12, v25, s7, -v23
	;; [unrolled: 1-line block ×3, first 2 shown]
	v_mov_b32_e32 v23, v4
	v_mov_b32_e32 v24, v5
	v_fmac_f32_e32 v11, 0x3d64c772, v10
	v_fma_f32 v10, v25, s6, -v13
	v_fmac_f32_e32 v13, 0x3d64c772, v15
	v_fma_f32 v15, v20, s5, -v26
	;; [unrolled: 2-line block ×4, first 2 shown]
	v_fmac_f32_e32 v23, 0xbf955555, v6
	v_fmac_f32_e32 v24, 0xbf955555, v7
	v_fma_f32 v25, v30, s4, -v29
	v_add_f32_e32 v28, v11, v23
	v_add_f32_e32 v29, v13, v24
	;; [unrolled: 1-line block ×5, first 2 shown]
	v_fmac_f32_e32 v26, 0xbee1c552, v14
	v_fmac_f32_e32 v27, 0xbee1c552, v9
	;; [unrolled: 1-line block ×5, first 2 shown]
	v_add_f32_e32 v6, v27, v28
	v_sub_f32_e32 v7, v29, v26
	v_add_f32_e32 v8, v25, v21
	v_sub_f32_e32 v9, v23, v22
	global_store_dwordx2 v[16:17], v[4:5], off offset:896
	global_store_dwordx2 v[16:17], v[6:7], off offset:2048
	;; [unrolled: 1-line block ×3, first 2 shown]
	v_or_b32_e32 v4, 0x220, v0
	v_mov_b32_e32 v5, v1
	v_lshlrev_b64 v[4:5], 3, v[4:5]
	v_or_b32_e32 v0, 0x340, v0
	v_add_co_u32_e32 v4, vcc, v18, v4
	v_lshlrev_b64 v[0:1], 3, v[0:1]
	v_addc_co_u32_e32 v5, vcc, v19, v5, vcc
	v_add_f32_e32 v30, v12, v24
	v_fmac_f32_e32 v15, 0xbee1c552, v14
	v_add_co_u32_e32 v0, vcc, v18, v0
	v_sub_f32_e32 v10, v13, v20
	v_add_f32_e32 v11, v15, v30
	v_add_f32_e32 v12, v20, v13
	v_sub_f32_e32 v13, v30, v15
	v_sub_f32_e32 v14, v21, v25
	v_add_f32_e32 v15, v22, v23
	v_addc_co_u32_e32 v1, vcc, v19, v1, vcc
	v_sub_f32_e32 v20, v28, v27
	v_add_f32_e32 v21, v26, v29
	global_store_dwordx2 v[4:5], v[10:11], off
	global_store_dwordx2 v[2:3], v[12:13], off offset:1408
	global_store_dwordx2 v[0:1], v[14:15], off
	global_store_dwordx2 v[2:3], v[20:21], off offset:3712
.LBB0_20:
	s_endpgm
	.section	.rodata,"a",@progbits
	.p2align	6, 0x0
	.amdhsa_kernel fft_rtc_back_len1008_factors_2_2_2_2_3_3_7_wgs_56_tpt_56_halfLds_sp_ip_CI_unitstride_sbrr_dirReg
		.amdhsa_group_segment_fixed_size 0
		.amdhsa_private_segment_fixed_size 0
		.amdhsa_kernarg_size 88
		.amdhsa_user_sgpr_count 6
		.amdhsa_user_sgpr_private_segment_buffer 1
		.amdhsa_user_sgpr_dispatch_ptr 0
		.amdhsa_user_sgpr_queue_ptr 0
		.amdhsa_user_sgpr_kernarg_segment_ptr 1
		.amdhsa_user_sgpr_dispatch_id 0
		.amdhsa_user_sgpr_flat_scratch_init 0
		.amdhsa_user_sgpr_private_segment_size 0
		.amdhsa_uses_dynamic_stack 0
		.amdhsa_system_sgpr_private_segment_wavefront_offset 0
		.amdhsa_system_sgpr_workgroup_id_x 1
		.amdhsa_system_sgpr_workgroup_id_y 0
		.amdhsa_system_sgpr_workgroup_id_z 0
		.amdhsa_system_sgpr_workgroup_info 0
		.amdhsa_system_vgpr_workitem_id 0
		.amdhsa_next_free_vgpr 84
		.amdhsa_next_free_sgpr 22
		.amdhsa_reserve_vcc 1
		.amdhsa_reserve_flat_scratch 0
		.amdhsa_float_round_mode_32 0
		.amdhsa_float_round_mode_16_64 0
		.amdhsa_float_denorm_mode_32 3
		.amdhsa_float_denorm_mode_16_64 3
		.amdhsa_dx10_clamp 1
		.amdhsa_ieee_mode 1
		.amdhsa_fp16_overflow 0
		.amdhsa_exception_fp_ieee_invalid_op 0
		.amdhsa_exception_fp_denorm_src 0
		.amdhsa_exception_fp_ieee_div_zero 0
		.amdhsa_exception_fp_ieee_overflow 0
		.amdhsa_exception_fp_ieee_underflow 0
		.amdhsa_exception_fp_ieee_inexact 0
		.amdhsa_exception_int_div_zero 0
	.end_amdhsa_kernel
	.text
.Lfunc_end0:
	.size	fft_rtc_back_len1008_factors_2_2_2_2_3_3_7_wgs_56_tpt_56_halfLds_sp_ip_CI_unitstride_sbrr_dirReg, .Lfunc_end0-fft_rtc_back_len1008_factors_2_2_2_2_3_3_7_wgs_56_tpt_56_halfLds_sp_ip_CI_unitstride_sbrr_dirReg
                                        ; -- End function
	.section	.AMDGPU.csdata,"",@progbits
; Kernel info:
; codeLenInByte = 10240
; NumSgprs: 26
; NumVgprs: 84
; ScratchSize: 0
; MemoryBound: 0
; FloatMode: 240
; IeeeMode: 1
; LDSByteSize: 0 bytes/workgroup (compile time only)
; SGPRBlocks: 3
; VGPRBlocks: 20
; NumSGPRsForWavesPerEU: 26
; NumVGPRsForWavesPerEU: 84
; Occupancy: 3
; WaveLimiterHint : 1
; COMPUTE_PGM_RSRC2:SCRATCH_EN: 0
; COMPUTE_PGM_RSRC2:USER_SGPR: 6
; COMPUTE_PGM_RSRC2:TRAP_HANDLER: 0
; COMPUTE_PGM_RSRC2:TGID_X_EN: 1
; COMPUTE_PGM_RSRC2:TGID_Y_EN: 0
; COMPUTE_PGM_RSRC2:TGID_Z_EN: 0
; COMPUTE_PGM_RSRC2:TIDIG_COMP_CNT: 0
	.type	__hip_cuid_297b94483f7ef79d,@object ; @__hip_cuid_297b94483f7ef79d
	.section	.bss,"aw",@nobits
	.globl	__hip_cuid_297b94483f7ef79d
__hip_cuid_297b94483f7ef79d:
	.byte	0                               ; 0x0
	.size	__hip_cuid_297b94483f7ef79d, 1

	.ident	"AMD clang version 19.0.0git (https://github.com/RadeonOpenCompute/llvm-project roc-6.4.0 25133 c7fe45cf4b819c5991fe208aaa96edf142730f1d)"
	.section	".note.GNU-stack","",@progbits
	.addrsig
	.addrsig_sym __hip_cuid_297b94483f7ef79d
	.amdgpu_metadata
---
amdhsa.kernels:
  - .args:
      - .actual_access:  read_only
        .address_space:  global
        .offset:         0
        .size:           8
        .value_kind:     global_buffer
      - .offset:         8
        .size:           8
        .value_kind:     by_value
      - .actual_access:  read_only
        .address_space:  global
        .offset:         16
        .size:           8
        .value_kind:     global_buffer
      - .actual_access:  read_only
        .address_space:  global
        .offset:         24
        .size:           8
        .value_kind:     global_buffer
      - .offset:         32
        .size:           8
        .value_kind:     by_value
      - .actual_access:  read_only
        .address_space:  global
        .offset:         40
        .size:           8
        .value_kind:     global_buffer
      - .actual_access:  read_only
        .address_space:  global
        .offset:         48
        .size:           8
        .value_kind:     global_buffer
      - .offset:         56
        .size:           4
        .value_kind:     by_value
      - .actual_access:  read_only
        .address_space:  global
        .offset:         64
        .size:           8
        .value_kind:     global_buffer
      - .actual_access:  read_only
        .address_space:  global
        .offset:         72
        .size:           8
        .value_kind:     global_buffer
      - .address_space:  global
        .offset:         80
        .size:           8
        .value_kind:     global_buffer
    .group_segment_fixed_size: 0
    .kernarg_segment_align: 8
    .kernarg_segment_size: 88
    .language:       OpenCL C
    .language_version:
      - 2
      - 0
    .max_flat_workgroup_size: 56
    .name:           fft_rtc_back_len1008_factors_2_2_2_2_3_3_7_wgs_56_tpt_56_halfLds_sp_ip_CI_unitstride_sbrr_dirReg
    .private_segment_fixed_size: 0
    .sgpr_count:     26
    .sgpr_spill_count: 0
    .symbol:         fft_rtc_back_len1008_factors_2_2_2_2_3_3_7_wgs_56_tpt_56_halfLds_sp_ip_CI_unitstride_sbrr_dirReg.kd
    .uniform_work_group_size: 1
    .uses_dynamic_stack: false
    .vgpr_count:     84
    .vgpr_spill_count: 0
    .wavefront_size: 64
amdhsa.target:   amdgcn-amd-amdhsa--gfx906
amdhsa.version:
  - 1
  - 2
...

	.end_amdgpu_metadata
